;; amdgpu-corpus repo=ROCm/rocFFT kind=compiled arch=gfx1030 opt=O3
	.text
	.amdgcn_target "amdgcn-amd-amdhsa--gfx1030"
	.amdhsa_code_object_version 6
	.protected	fft_rtc_back_len1144_factors_13_11_8_wgs_104_tpt_104_dp_op_CI_CI_unitstride_sbrr_C2R_dirReg ; -- Begin function fft_rtc_back_len1144_factors_13_11_8_wgs_104_tpt_104_dp_op_CI_CI_unitstride_sbrr_C2R_dirReg
	.globl	fft_rtc_back_len1144_factors_13_11_8_wgs_104_tpt_104_dp_op_CI_CI_unitstride_sbrr_C2R_dirReg
	.p2align	8
	.type	fft_rtc_back_len1144_factors_13_11_8_wgs_104_tpt_104_dp_op_CI_CI_unitstride_sbrr_C2R_dirReg,@function
fft_rtc_back_len1144_factors_13_11_8_wgs_104_tpt_104_dp_op_CI_CI_unitstride_sbrr_C2R_dirReg: ; @fft_rtc_back_len1144_factors_13_11_8_wgs_104_tpt_104_dp_op_CI_CI_unitstride_sbrr_C2R_dirReg
; %bb.0:
	s_clause 0x2
	s_load_dwordx4 s[12:15], s[4:5], 0x0
	s_load_dwordx4 s[8:11], s[4:5], 0x58
	;; [unrolled: 1-line block ×3, first 2 shown]
	v_mul_u32_u24_e32 v1, 0x277, v0
	v_mov_b32_e32 v3, 0
	v_add_nc_u32_sdwa v5, s6, v1 dst_sel:DWORD dst_unused:UNUSED_PAD src0_sel:DWORD src1_sel:WORD_1
	v_mov_b32_e32 v1, 0
	v_mov_b32_e32 v6, v3
	v_mov_b32_e32 v2, 0
	s_waitcnt lgkmcnt(0)
	v_cmp_lt_u64_e64 s0, s[14:15], 2
	s_and_b32 vcc_lo, exec_lo, s0
	s_cbranch_vccnz .LBB0_8
; %bb.1:
	s_load_dwordx2 s[0:1], s[4:5], 0x10
	v_mov_b32_e32 v1, 0
	v_mov_b32_e32 v2, 0
	s_add_u32 s2, s18, 8
	s_addc_u32 s3, s19, 0
	s_add_u32 s6, s16, 8
	s_addc_u32 s7, s17, 0
	v_mov_b32_e32 v93, v2
	v_mov_b32_e32 v92, v1
	s_mov_b64 s[22:23], 1
	s_waitcnt lgkmcnt(0)
	s_add_u32 s20, s0, 8
	s_addc_u32 s21, s1, 0
.LBB0_2:                                ; =>This Inner Loop Header: Depth=1
	s_load_dwordx2 s[24:25], s[20:21], 0x0
                                        ; implicit-def: $vgpr96_vgpr97
	s_mov_b32 s0, exec_lo
	s_waitcnt lgkmcnt(0)
	v_or_b32_e32 v4, s25, v6
	v_cmpx_ne_u64_e32 0, v[3:4]
	s_xor_b32 s1, exec_lo, s0
	s_cbranch_execz .LBB0_4
; %bb.3:                                ;   in Loop: Header=BB0_2 Depth=1
	v_cvt_f32_u32_e32 v4, s24
	v_cvt_f32_u32_e32 v7, s25
	s_sub_u32 s0, 0, s24
	s_subb_u32 s26, 0, s25
	v_fmac_f32_e32 v4, 0x4f800000, v7
	v_rcp_f32_e32 v4, v4
	v_mul_f32_e32 v4, 0x5f7ffffc, v4
	v_mul_f32_e32 v7, 0x2f800000, v4
	v_trunc_f32_e32 v7, v7
	v_fmac_f32_e32 v4, 0xcf800000, v7
	v_cvt_u32_f32_e32 v7, v7
	v_cvt_u32_f32_e32 v4, v4
	v_mul_lo_u32 v8, s0, v7
	v_mul_hi_u32 v9, s0, v4
	v_mul_lo_u32 v10, s26, v4
	v_add_nc_u32_e32 v8, v9, v8
	v_mul_lo_u32 v9, s0, v4
	v_add_nc_u32_e32 v8, v8, v10
	v_mul_hi_u32 v10, v4, v9
	v_mul_lo_u32 v11, v4, v8
	v_mul_hi_u32 v12, v4, v8
	v_mul_hi_u32 v13, v7, v9
	v_mul_lo_u32 v9, v7, v9
	v_mul_hi_u32 v14, v7, v8
	v_mul_lo_u32 v8, v7, v8
	v_add_co_u32 v10, vcc_lo, v10, v11
	v_add_co_ci_u32_e32 v11, vcc_lo, 0, v12, vcc_lo
	v_add_co_u32 v9, vcc_lo, v10, v9
	v_add_co_ci_u32_e32 v9, vcc_lo, v11, v13, vcc_lo
	v_add_co_ci_u32_e32 v10, vcc_lo, 0, v14, vcc_lo
	v_add_co_u32 v8, vcc_lo, v9, v8
	v_add_co_ci_u32_e32 v9, vcc_lo, 0, v10, vcc_lo
	v_add_co_u32 v4, vcc_lo, v4, v8
	v_add_co_ci_u32_e32 v7, vcc_lo, v7, v9, vcc_lo
	v_mul_hi_u32 v8, s0, v4
	v_mul_lo_u32 v10, s26, v4
	v_mul_lo_u32 v9, s0, v7
	v_add_nc_u32_e32 v8, v8, v9
	v_mul_lo_u32 v9, s0, v4
	v_add_nc_u32_e32 v8, v8, v10
	v_mul_hi_u32 v10, v4, v9
	v_mul_lo_u32 v11, v4, v8
	v_mul_hi_u32 v12, v4, v8
	v_mul_hi_u32 v13, v7, v9
	v_mul_lo_u32 v9, v7, v9
	v_mul_hi_u32 v14, v7, v8
	v_mul_lo_u32 v8, v7, v8
	v_add_co_u32 v10, vcc_lo, v10, v11
	v_add_co_ci_u32_e32 v11, vcc_lo, 0, v12, vcc_lo
	v_add_co_u32 v9, vcc_lo, v10, v9
	v_add_co_ci_u32_e32 v9, vcc_lo, v11, v13, vcc_lo
	v_add_co_ci_u32_e32 v10, vcc_lo, 0, v14, vcc_lo
	v_add_co_u32 v8, vcc_lo, v9, v8
	v_add_co_ci_u32_e32 v9, vcc_lo, 0, v10, vcc_lo
	v_add_co_u32 v4, vcc_lo, v4, v8
	v_add_co_ci_u32_e32 v11, vcc_lo, v7, v9, vcc_lo
	v_mul_hi_u32 v13, v5, v4
	v_mad_u64_u32 v[9:10], null, v6, v4, 0
	v_mad_u64_u32 v[7:8], null, v5, v11, 0
	;; [unrolled: 1-line block ×3, first 2 shown]
	v_add_co_u32 v4, vcc_lo, v13, v7
	v_add_co_ci_u32_e32 v7, vcc_lo, 0, v8, vcc_lo
	v_add_co_u32 v4, vcc_lo, v4, v9
	v_add_co_ci_u32_e32 v4, vcc_lo, v7, v10, vcc_lo
	v_add_co_ci_u32_e32 v7, vcc_lo, 0, v12, vcc_lo
	v_add_co_u32 v4, vcc_lo, v4, v11
	v_add_co_ci_u32_e32 v9, vcc_lo, 0, v7, vcc_lo
	v_mul_lo_u32 v10, s25, v4
	v_mad_u64_u32 v[7:8], null, s24, v4, 0
	v_mul_lo_u32 v11, s24, v9
	v_sub_co_u32 v7, vcc_lo, v5, v7
	v_add3_u32 v8, v8, v11, v10
	v_sub_nc_u32_e32 v10, v6, v8
	v_subrev_co_ci_u32_e64 v10, s0, s25, v10, vcc_lo
	v_add_co_u32 v11, s0, v4, 2
	v_add_co_ci_u32_e64 v12, s0, 0, v9, s0
	v_sub_co_u32 v13, s0, v7, s24
	v_sub_co_ci_u32_e32 v8, vcc_lo, v6, v8, vcc_lo
	v_subrev_co_ci_u32_e64 v10, s0, 0, v10, s0
	v_cmp_le_u32_e32 vcc_lo, s24, v13
	v_cmp_eq_u32_e64 s0, s25, v8
	v_cndmask_b32_e64 v13, 0, -1, vcc_lo
	v_cmp_le_u32_e32 vcc_lo, s25, v10
	v_cndmask_b32_e64 v14, 0, -1, vcc_lo
	v_cmp_le_u32_e32 vcc_lo, s24, v7
	;; [unrolled: 2-line block ×3, first 2 shown]
	v_cndmask_b32_e64 v15, 0, -1, vcc_lo
	v_cmp_eq_u32_e32 vcc_lo, s25, v10
	v_cndmask_b32_e64 v7, v15, v7, s0
	v_cndmask_b32_e32 v10, v14, v13, vcc_lo
	v_add_co_u32 v13, vcc_lo, v4, 1
	v_add_co_ci_u32_e32 v14, vcc_lo, 0, v9, vcc_lo
	v_cmp_ne_u32_e32 vcc_lo, 0, v10
	v_cndmask_b32_e32 v8, v14, v12, vcc_lo
	v_cndmask_b32_e32 v10, v13, v11, vcc_lo
	v_cmp_ne_u32_e32 vcc_lo, 0, v7
	v_cndmask_b32_e32 v97, v9, v8, vcc_lo
	v_cndmask_b32_e32 v96, v4, v10, vcc_lo
.LBB0_4:                                ;   in Loop: Header=BB0_2 Depth=1
	s_andn2_saveexec_b32 s0, s1
	s_cbranch_execz .LBB0_6
; %bb.5:                                ;   in Loop: Header=BB0_2 Depth=1
	v_cvt_f32_u32_e32 v4, s24
	s_sub_i32 s1, 0, s24
	v_mov_b32_e32 v97, v3
	v_rcp_iflag_f32_e32 v4, v4
	v_mul_f32_e32 v4, 0x4f7ffffe, v4
	v_cvt_u32_f32_e32 v4, v4
	v_mul_lo_u32 v7, s1, v4
	v_mul_hi_u32 v7, v4, v7
	v_add_nc_u32_e32 v4, v4, v7
	v_mul_hi_u32 v4, v5, v4
	v_mul_lo_u32 v7, v4, s24
	v_add_nc_u32_e32 v8, 1, v4
	v_sub_nc_u32_e32 v7, v5, v7
	v_subrev_nc_u32_e32 v9, s24, v7
	v_cmp_le_u32_e32 vcc_lo, s24, v7
	v_cndmask_b32_e32 v7, v7, v9, vcc_lo
	v_cndmask_b32_e32 v4, v4, v8, vcc_lo
	v_cmp_le_u32_e32 vcc_lo, s24, v7
	v_add_nc_u32_e32 v8, 1, v4
	v_cndmask_b32_e32 v96, v4, v8, vcc_lo
.LBB0_6:                                ;   in Loop: Header=BB0_2 Depth=1
	s_or_b32 exec_lo, exec_lo, s0
	v_mul_lo_u32 v4, v97, s24
	v_mul_lo_u32 v9, v96, s25
	s_load_dwordx2 s[0:1], s[6:7], 0x0
	v_mad_u64_u32 v[7:8], null, v96, s24, 0
	s_load_dwordx2 s[24:25], s[2:3], 0x0
	s_add_u32 s22, s22, 1
	s_addc_u32 s23, s23, 0
	s_add_u32 s2, s2, 8
	s_addc_u32 s3, s3, 0
	s_add_u32 s6, s6, 8
	v_add3_u32 v4, v8, v9, v4
	v_sub_co_u32 v5, vcc_lo, v5, v7
	s_addc_u32 s7, s7, 0
	s_add_u32 s20, s20, 8
	v_sub_co_ci_u32_e32 v4, vcc_lo, v6, v4, vcc_lo
	s_addc_u32 s21, s21, 0
	s_waitcnt lgkmcnt(0)
	v_mul_lo_u32 v6, s0, v4
	v_mul_lo_u32 v7, s1, v5
	v_mad_u64_u32 v[1:2], null, s0, v5, v[1:2]
	v_mul_lo_u32 v4, s24, v4
	v_mul_lo_u32 v8, s25, v5
	v_mad_u64_u32 v[92:93], null, s24, v5, v[92:93]
	v_cmp_ge_u64_e64 s0, s[22:23], s[14:15]
	v_add3_u32 v2, v7, v2, v6
	v_add3_u32 v93, v8, v93, v4
	s_and_b32 vcc_lo, exec_lo, s0
	s_cbranch_vccnz .LBB0_9
; %bb.7:                                ;   in Loop: Header=BB0_2 Depth=1
	v_mov_b32_e32 v5, v96
	v_mov_b32_e32 v6, v97
	s_branch .LBB0_2
.LBB0_8:
	v_mov_b32_e32 v93, v2
	v_mov_b32_e32 v97, v6
	;; [unrolled: 1-line block ×4, first 2 shown]
.LBB0_9:
	s_load_dwordx2 s[0:1], s[4:5], 0x28
	v_mul_hi_u32 v3, 0x2762763, v0
	s_lshl_b64 s[4:5], s[14:15], 3
                                        ; implicit-def: $vgpr94
	s_add_u32 s2, s18, s4
	s_addc_u32 s3, s19, s5
	s_waitcnt lgkmcnt(0)
	v_cmp_gt_u64_e32 vcc_lo, s[0:1], v[96:97]
	v_cmp_le_u64_e64 s0, s[0:1], v[96:97]
	s_and_saveexec_b32 s1, s0
	s_xor_b32 s0, exec_lo, s1
; %bb.10:
	v_mul_u32_u24_e32 v1, 0x68, v3
                                        ; implicit-def: $vgpr3
	v_sub_nc_u32_e32 v94, v0, v1
                                        ; implicit-def: $vgpr0
                                        ; implicit-def: $vgpr1_vgpr2
; %bb.11:
	s_or_saveexec_b32 s1, s0
	s_load_dwordx2 s[2:3], s[2:3], 0x0
	s_xor_b32 exec_lo, exec_lo, s1
	s_cbranch_execz .LBB0_15
; %bb.12:
	s_add_u32 s4, s16, s4
	s_addc_u32 s5, s17, s5
	v_lshlrev_b64 v[1:2], 4, v[1:2]
	s_load_dwordx2 s[4:5], s[4:5], 0x0
	s_waitcnt lgkmcnt(0)
	v_mul_lo_u32 v6, s5, v96
	v_mul_lo_u32 v7, s4, v97
	v_mad_u64_u32 v[4:5], null, s4, v96, 0
	s_mov_b32 s4, exec_lo
	v_add3_u32 v5, v5, v7, v6
	v_mul_u32_u24_e32 v6, 0x68, v3
	v_lshlrev_b64 v[3:4], 4, v[4:5]
	v_sub_nc_u32_e32 v94, v0, v6
	v_lshlrev_b32_e32 v46, 4, v94
	v_add_co_u32 v0, s0, s8, v3
	v_add_co_ci_u32_e64 v3, s0, s9, v4, s0
	v_add_co_u32 v0, s0, v0, v1
	v_add_co_ci_u32_e64 v1, s0, v3, v2, s0
	;; [unrolled: 2-line block ×3, first 2 shown]
	s_clause 0x1
	global_load_dwordx4 v[2:5], v[10:11], off
	global_load_dwordx4 v[6:9], v[10:11], off offset:1664
	v_add_co_u32 v12, s0, 0x800, v10
	v_add_co_ci_u32_e64 v13, s0, 0, v11, s0
	v_add_co_u32 v14, s0, 0x1000, v10
	v_add_co_ci_u32_e64 v15, s0, 0, v11, s0
	;; [unrolled: 2-line block ×8, first 2 shown]
	s_clause 0x8
	global_load_dwordx4 v[10:13], v[12:13], off offset:1280
	global_load_dwordx4 v[14:17], v[14:15], off offset:896
	;; [unrolled: 1-line block ×9, first 2 shown]
	v_add_nc_u32_e32 v46, 0, v46
	s_waitcnt vmcnt(10)
	ds_write_b128 v46, v[2:5]
	s_waitcnt vmcnt(9)
	ds_write_b128 v46, v[6:9] offset:1664
	s_waitcnt vmcnt(8)
	ds_write_b128 v46, v[10:13] offset:3328
	;; [unrolled: 2-line block ×10, first 2 shown]
	v_cmpx_eq_u32_e32 0x67, v94
	s_cbranch_execz .LBB0_14
; %bb.13:
	v_add_co_u32 v0, s0, 0x4000, v0
	v_add_co_ci_u32_e64 v1, s0, 0, v1, s0
	v_mov_b32_e32 v4, 0
	v_mov_b32_e32 v94, 0x67
	global_load_dwordx4 v[0:3], v[0:1], off offset:1920
	s_waitcnt vmcnt(0)
	ds_write_b128 v4, v[0:3] offset:18304
.LBB0_14:
	s_or_b32 exec_lo, exec_lo, s4
.LBB0_15:
	s_or_b32 exec_lo, exec_lo, s1
	v_lshlrev_b32_e32 v0, 4, v94
	s_waitcnt lgkmcnt(0)
	s_barrier
	buffer_gl0_inv
	s_add_u32 s1, s12, 0x46b0
	v_add_nc_u32_e32 v162, 0, v0
	v_sub_nc_u32_e32 v6, 0, v0
	s_addc_u32 s4, s13, 0
	s_mov_b32 s5, exec_lo
	ds_read_b64 v[2:3], v162
	ds_read_b64 v[4:5], v6 offset:18304
	s_waitcnt lgkmcnt(0)
	v_add_f64 v[0:1], v[2:3], v[4:5]
	v_add_f64 v[2:3], v[2:3], -v[4:5]
                                        ; implicit-def: $vgpr4_vgpr5
	v_cmpx_ne_u32_e32 0, v94
	s_xor_b32 s5, exec_lo, s5
	s_cbranch_execz .LBB0_17
; %bb.16:
	v_mov_b32_e32 v95, 0
	v_lshlrev_b64 v[4:5], 4, v[94:95]
	v_add_co_u32 v4, s0, s1, v4
	v_add_co_ci_u32_e64 v5, s0, s4, v5, s0
	global_load_dwordx4 v[7:10], v[4:5], off
	ds_read_b64 v[4:5], v6 offset:18312
	ds_read_b64 v[11:12], v162 offset:8
	s_waitcnt lgkmcnt(0)
	v_add_f64 v[13:14], v[4:5], v[11:12]
	v_add_f64 v[4:5], v[11:12], -v[4:5]
	s_waitcnt vmcnt(0)
	v_fma_f64 v[11:12], v[2:3], v[9:10], v[0:1]
	v_fma_f64 v[15:16], v[13:14], v[9:10], v[4:5]
	v_fma_f64 v[0:1], -v[2:3], v[9:10], v[0:1]
	v_fma_f64 v[4:5], v[13:14], v[9:10], -v[4:5]
	v_fma_f64 v[9:10], -v[13:14], v[7:8], v[11:12]
	v_fma_f64 v[11:12], v[2:3], v[7:8], v[15:16]
	v_fma_f64 v[0:1], v[13:14], v[7:8], v[0:1]
	v_fma_f64 v[2:3], v[2:3], v[7:8], v[4:5]
	v_mov_b32_e32 v4, v94
	v_mov_b32_e32 v5, v95
	ds_write_b128 v162, v[9:12]
	ds_write_b128 v6, v[0:3] offset:18304
                                        ; implicit-def: $vgpr0_vgpr1
.LBB0_17:
	s_andn2_saveexec_b32 s0, s5
	s_cbranch_execz .LBB0_19
; %bb.18:
	v_mov_b32_e32 v7, 0
	ds_write_b128 v162, v[0:3]
	v_mov_b32_e32 v4, 0
	v_mov_b32_e32 v5, 0
	ds_read_b128 v[0:3], v7 offset:9152
	s_waitcnt lgkmcnt(0)
	v_add_f64 v[0:1], v[0:1], v[0:1]
	v_mul_f64 v[2:3], v[2:3], -2.0
	ds_write_b128 v7, v[0:3] offset:9152
.LBB0_19:
	s_or_b32 exec_lo, exec_lo, s0
	v_lshlrev_b64 v[0:1], 4, v[4:5]
	v_add_co_u32 v0, s0, s1, v0
	v_add_co_ci_u32_e64 v1, s0, s4, v1, s0
	s_mov_b32 s1, exec_lo
	v_add_co_u32 v7, s0, 0x800, v0
	global_load_dwordx4 v[2:5], v[0:1], off offset:1664
	v_add_co_ci_u32_e64 v8, s0, 0, v1, s0
	v_add_co_u32 v11, s0, 0x1000, v0
	v_add_co_ci_u32_e64 v12, s0, 0, v1, s0
	global_load_dwordx4 v[7:10], v[7:8], off offset:1280
	v_add_co_u32 v23, s0, 0x1800, v0
	global_load_dwordx4 v[11:14], v[11:12], off offset:896
	v_add_co_ci_u32_e64 v24, s0, 0, v1, s0
	ds_read_b128 v[15:18], v162 offset:1664
	ds_read_b128 v[19:22], v6 offset:16640
	global_load_dwordx4 v[23:26], v[23:24], off offset:512
	s_waitcnt lgkmcnt(0)
	v_add_f64 v[27:28], v[15:16], v[19:20]
	v_add_f64 v[29:30], v[21:22], v[17:18]
	v_add_f64 v[31:32], v[15:16], -v[19:20]
	v_add_f64 v[15:16], v[17:18], -v[21:22]
	s_waitcnt vmcnt(3)
	v_fma_f64 v[17:18], v[31:32], v[4:5], v[27:28]
	v_fma_f64 v[19:20], v[29:30], v[4:5], v[15:16]
	v_fma_f64 v[21:22], -v[31:32], v[4:5], v[27:28]
	v_fma_f64 v[4:5], v[29:30], v[4:5], -v[15:16]
	v_fma_f64 v[15:16], -v[29:30], v[2:3], v[17:18]
	v_fma_f64 v[17:18], v[31:32], v[2:3], v[19:20]
	v_fma_f64 v[19:20], v[29:30], v[2:3], v[21:22]
	v_fma_f64 v[21:22], v[31:32], v[2:3], v[4:5]
	ds_write_b128 v162, v[15:18] offset:1664
	ds_write_b128 v6, v[19:22] offset:16640
	ds_read_b128 v[2:5], v162 offset:3328
	ds_read_b128 v[15:18], v6 offset:14976
	s_waitcnt lgkmcnt(0)
	v_add_f64 v[19:20], v[2:3], v[15:16]
	v_add_f64 v[21:22], v[17:18], v[4:5]
	v_add_f64 v[27:28], v[2:3], -v[15:16]
	v_add_f64 v[2:3], v[4:5], -v[17:18]
	s_waitcnt vmcnt(2)
	v_fma_f64 v[4:5], v[27:28], v[9:10], v[19:20]
	v_fma_f64 v[15:16], v[21:22], v[9:10], v[2:3]
	v_fma_f64 v[17:18], -v[27:28], v[9:10], v[19:20]
	v_fma_f64 v[9:10], v[21:22], v[9:10], -v[2:3]
	v_fma_f64 v[2:3], -v[21:22], v[7:8], v[4:5]
	v_fma_f64 v[4:5], v[27:28], v[7:8], v[15:16]
	v_fma_f64 v[15:16], v[21:22], v[7:8], v[17:18]
	v_fma_f64 v[17:18], v[27:28], v[7:8], v[9:10]
	ds_write_b128 v162, v[2:5] offset:3328
	ds_write_b128 v6, v[15:18] offset:14976
	ds_read_b128 v[2:5], v162 offset:4992
	ds_read_b128 v[7:10], v6 offset:13312
	;; [unrolled: 18-line block ×3, first 2 shown]
	s_waitcnt lgkmcnt(0)
	v_add_f64 v[11:12], v[2:3], v[7:8]
	v_add_f64 v[13:14], v[9:10], v[4:5]
	v_add_f64 v[15:16], v[2:3], -v[7:8]
	v_add_f64 v[2:3], v[4:5], -v[9:10]
	s_waitcnt vmcnt(0)
	v_fma_f64 v[4:5], v[15:16], v[25:26], v[11:12]
	v_fma_f64 v[7:8], v[13:14], v[25:26], v[2:3]
	v_fma_f64 v[9:10], -v[15:16], v[25:26], v[11:12]
	v_fma_f64 v[11:12], v[13:14], v[25:26], -v[2:3]
	v_fma_f64 v[2:3], -v[13:14], v[23:24], v[4:5]
	v_fma_f64 v[4:5], v[15:16], v[23:24], v[7:8]
	v_fma_f64 v[7:8], v[13:14], v[23:24], v[9:10]
	v_fma_f64 v[9:10], v[15:16], v[23:24], v[11:12]
	ds_write_b128 v162, v[2:5] offset:6656
	ds_write_b128 v6, v[7:10] offset:11648
	v_cmpx_gt_u32_e32 52, v94
	s_cbranch_execz .LBB0_21
; %bb.20:
	v_add_co_u32 v0, s0, 0x2000, v0
	v_add_co_ci_u32_e64 v1, s0, 0, v1, s0
	global_load_dwordx4 v[0:3], v[0:1], off offset:128
	ds_read_b128 v[7:10], v162 offset:8320
	ds_read_b128 v[11:14], v6 offset:9984
	s_waitcnt lgkmcnt(0)
	v_add_f64 v[4:5], v[7:8], v[11:12]
	v_add_f64 v[15:16], v[13:14], v[9:10]
	v_add_f64 v[11:12], v[7:8], -v[11:12]
	v_add_f64 v[7:8], v[9:10], -v[13:14]
	s_waitcnt vmcnt(0)
	v_fma_f64 v[9:10], v[11:12], v[2:3], v[4:5]
	v_fma_f64 v[13:14], v[15:16], v[2:3], v[7:8]
	v_fma_f64 v[17:18], -v[11:12], v[2:3], v[4:5]
	v_fma_f64 v[19:20], v[15:16], v[2:3], -v[7:8]
	v_fma_f64 v[2:3], -v[15:16], v[0:1], v[9:10]
	v_fma_f64 v[4:5], v[11:12], v[0:1], v[13:14]
	v_fma_f64 v[7:8], v[15:16], v[0:1], v[17:18]
	;; [unrolled: 1-line block ×3, first 2 shown]
	ds_write_b128 v162, v[2:5] offset:8320
	ds_write_b128 v6, v[7:10] offset:9984
.LBB0_21:
	s_or_b32 exec_lo, exec_lo, s1
	s_waitcnt lgkmcnt(0)
	s_barrier
	buffer_gl0_inv
	s_barrier
	buffer_gl0_inv
	ds_read_b128 v[8:11], v162 offset:16896
	ds_read_b128 v[40:43], v162 offset:1408
	;; [unrolled: 1-line block ×4, first 2 shown]
	ds_read_b128 v[20:23], v162
	s_mov_b32 s6, 0xe00740e9
	s_mov_b32 s38, 0x4267c47c
	;; [unrolled: 1-line block ×8, first 2 shown]
	ds_read_b128 v[28:31], v162 offset:4224
	ds_read_b128 v[56:59], v162 offset:5632
	;; [unrolled: 1-line block ×4, first 2 shown]
	s_mov_b32 s20, 0xb2365da1
	s_mov_b32 s21, 0xbfd6b1d8
	;; [unrolled: 1-line block ×4, first 2 shown]
	s_waitcnt lgkmcnt(7)
	v_add_f64 v[154:155], v[42:43], -v[10:11]
	v_add_f64 v[70:71], v[42:43], v[10:11]
	s_waitcnt lgkmcnt(5)
	v_add_f64 v[62:63], v[34:35], -v[14:15]
	v_add_f64 v[60:61], v[34:35], v[14:15]
	v_add_f64 v[80:81], v[40:41], v[8:9]
	v_add_f64 v[160:161], v[40:41], -v[8:9]
	v_add_f64 v[120:121], v[32:33], v[12:13]
	v_add_f64 v[152:153], v[32:33], -v[12:13]
	s_mov_b32 s16, 0xebaa3ed8
	s_mov_b32 s28, 0x66966769
	;; [unrolled: 1-line block ×6, first 2 shown]
	s_waitcnt lgkmcnt(1)
	v_add_f64 v[138:139], v[30:31], -v[18:19]
	v_add_f64 v[108:109], v[30:31], v[18:19]
	s_mov_b32 s19, 0xbfef11f4
	s_mov_b32 s25, 0xbfcea1e5
	v_add_f64 v[134:135], v[28:29], v[16:17]
	v_add_f64 v[150:151], v[28:29], -v[16:17]
	s_waitcnt lgkmcnt(0)
	v_add_f64 v[86:87], v[58:59], -v[26:27]
	v_add_f64 v[64:65], v[58:59], v[26:27]
	v_mul_f64 v[78:79], v[154:155], s[38:39]
	v_mul_f64 v[82:83], v[70:71], s[6:7]
	;; [unrolled: 1-line block ×8, first 2 shown]
	ds_read_b128 v[48:51], v162 offset:7040
	ds_read_b128 v[36:39], v162 offset:11264
	s_mov_b32 s14, 0xd0032e0c
	s_mov_b32 s30, 0x24c2f84
	;; [unrolled: 1-line block ×4, first 2 shown]
	v_add_f64 v[72:73], v[56:57], v[24:25]
	v_mul_f64 v[84:85], v[138:139], s[28:29]
	v_mul_f64 v[110:111], v[108:109], s[16:17]
	;; [unrolled: 1-line block ×4, first 2 shown]
	v_add_f64 v[144:145], v[56:57], -v[24:25]
	ds_read_b128 v[52:55], v162 offset:8448
	ds_read_b128 v[44:47], v162 offset:9856
	v_mul_f64 v[90:91], v[86:87], s[26:27]
	v_mul_f64 v[100:101], v[64:65], s[20:21]
	v_fma_f64 v[0:1], v[80:81], s[6:7], -v[78:79]
	v_fma_f64 v[2:3], v[160:161], s[38:39], v[82:83]
	v_fma_f64 v[4:5], v[80:81], s[4:5], -v[156:157]
	v_fma_f64 v[6:7], v[160:161], s[8:9], v[158:159]
	;; [unrolled: 2-line block ×4, first 2 shown]
	s_waitcnt lgkmcnt(2)
	v_add_f64 v[102:103], v[50:51], -v[38:39]
	v_add_f64 v[66:67], v[50:51], v[38:39]
	v_mul_f64 v[116:117], v[86:87], s[30:31]
	v_mul_f64 v[136:137], v[64:65], s[14:15]
	s_mov_b32 s23, 0xbfe5384d
	s_mov_b32 s35, 0x3fefc445
	v_fma_f64 v[106:107], v[134:135], s[16:17], -v[84:85]
	v_fma_f64 v[118:119], v[150:151], s[28:29], v[110:111]
	v_fma_f64 v[130:131], v[134:135], s[18:19], -v[126:127]
	v_fma_f64 v[148:149], v[150:151], s[24:25], v[140:141]
	s_mov_b32 s22, s30
	s_mov_b32 s34, s28
	v_add_f64 v[146:147], v[48:49], -v[36:37]
	s_waitcnt lgkmcnt(0)
	v_add_f64 v[124:125], v[54:55], -v[46:47]
	v_add_f64 v[0:1], v[20:21], v[0:1]
	v_add_f64 v[2:3], v[22:23], v[2:3]
	;; [unrolled: 1-line block ×4, first 2 shown]
	v_fma_f64 v[163:164], v[72:73], s[20:21], -v[90:91]
	v_fma_f64 v[165:166], v[144:145], s[26:27], v[100:101]
	s_mov_b32 s37, 0x3fddbe06
	s_mov_b32 s36, s38
	v_mul_f64 v[104:105], v[102:103], s[22:23]
	v_mul_f64 v[112:113], v[66:67], s[14:15]
	;; [unrolled: 1-line block ×4, first 2 shown]
	v_fma_f64 v[167:168], v[72:73], s[14:15], -v[116:117]
	v_fma_f64 v[169:170], v[144:145], s[30:31], v[136:137]
	s_mov_b32 s33, exec_lo
	s_barrier
	buffer_gl0_inv
	v_add_f64 v[0:1], v[68:69], v[0:1]
	v_add_f64 v[2:3], v[74:75], v[2:3]
	;; [unrolled: 1-line block ×7, first 2 shown]
	v_mul_f64 v[98:99], v[124:125], s[24:25]
	v_fma_f64 v[173:174], v[146:147], s[22:23], v[112:113]
	v_fma_f64 v[177:178], v[146:147], s[34:35], v[128:129]
	v_add_f64 v[0:1], v[106:107], v[0:1]
	v_add_f64 v[2:3], v[118:119], v[2:3]
	;; [unrolled: 1-line block ×4, first 2 shown]
	v_add_f64 v[148:149], v[52:53], -v[44:45]
	v_mul_f64 v[106:107], v[68:69], s[18:19]
	v_mul_f64 v[118:119], v[124:125], s[36:37]
	;; [unrolled: 1-line block ×3, first 2 shown]
	v_fma_f64 v[171:172], v[74:75], s[14:15], -v[104:105]
	v_fma_f64 v[175:176], v[74:75], s[16:17], -v[122:123]
	v_add_f64 v[0:1], v[163:164], v[0:1]
	v_add_f64 v[2:3], v[165:166], v[2:3]
	;; [unrolled: 1-line block ×4, first 2 shown]
	v_fma_f64 v[163:164], v[76:77], s[18:19], -v[98:99]
	v_fma_f64 v[165:166], v[148:149], s[24:25], v[106:107]
	v_fma_f64 v[167:168], v[76:77], s[6:7], -v[118:119]
	v_fma_f64 v[169:170], v[148:149], s[36:37], v[130:131]
	v_add_f64 v[0:1], v[171:172], v[0:1]
	v_add_f64 v[2:3], v[173:174], v[2:3]
	;; [unrolled: 1-line block ×8, first 2 shown]
	v_cmpx_gt_u32_e32 0x58, v94
	s_cbranch_execz .LBB0_23
; %bb.22:
	v_add_f64 v[42:43], v[22:23], v[42:43]
	v_add_f64 v[40:41], v[20:21], v[40:41]
	v_mul_f64 v[169:170], v[160:161], s[24:25]
	v_mul_f64 v[171:172], v[154:155], s[24:25]
	;; [unrolled: 1-line block ×20, first 2 shown]
	v_add_f64 v[34:35], v[42:43], v[34:35]
	v_add_f64 v[32:33], v[40:41], v[32:33]
	v_mul_f64 v[42:43], v[152:153], s[34:35]
	v_fma_f64 v[221:222], v[70:71], s[18:19], v[169:170]
	v_fma_f64 v[223:224], v[80:81], s[18:19], -v[171:172]
	v_fma_f64 v[171:172], v[80:81], s[18:19], v[171:172]
	v_fma_f64 v[227:228], v[70:71], s[14:15], v[177:178]
	v_fma_f64 v[229:230], v[80:81], s[14:15], -v[179:180]
	v_fma_f64 v[169:170], v[70:71], s[18:19], -v[169:170]
	;; [unrolled: 1-line block ×3, first 2 shown]
	v_fma_f64 v[179:180], v[80:81], s[14:15], v[179:180]
	v_fma_f64 v[231:232], v[70:71], s[20:21], v[181:182]
	v_mul_f64 v[40:41], v[150:151], s[8:9]
	v_fma_f64 v[233:234], v[80:81], s[20:21], -v[183:184]
	v_fma_f64 v[181:182], v[70:71], s[20:21], -v[181:182]
	v_fma_f64 v[183:184], v[80:81], s[20:21], v[183:184]
	v_fma_f64 v[235:236], v[70:71], s[16:17], v[160:161]
	v_fma_f64 v[70:71], v[70:71], s[16:17], -v[160:161]
	v_fma_f64 v[160:161], v[80:81], s[16:17], -v[154:155]
	v_fma_f64 v[237:238], v[60:61], s[6:7], v[187:188]
	v_fma_f64 v[239:240], v[120:121], s[6:7], -v[191:192]
	v_add_f64 v[78:79], v[163:164], v[78:79]
	v_add_f64 v[30:31], v[34:35], v[30:31]
	;; [unrolled: 1-line block ×3, first 2 shown]
	v_fma_f64 v[163:164], v[120:121], s[16:17], -v[193:194]
	v_add_f64 v[221:222], v[22:23], v[221:222]
	v_add_f64 v[223:224], v[20:21], v[223:224]
	s_mov_b32 s1, 0x3fea55e2
	s_mov_b32 s0, s8
	;; [unrolled: 1-line block ×3, first 2 shown]
	v_add_f64 v[169:170], v[22:23], v[169:170]
	v_add_f64 v[177:178], v[22:23], v[177:178]
	;; [unrolled: 1-line block ×4, first 2 shown]
	s_mov_b32 s38, s24
	v_mul_f64 v[219:220], v[86:87], s[0:1]
	v_mul_f64 v[34:35], v[86:87], s[38:39]
	;; [unrolled: 1-line block ×5, first 2 shown]
	v_add_f64 v[82:83], v[82:83], -v[165:166]
	v_fma_f64 v[165:166], v[108:109], s[14:15], v[185:186]
	v_fma_f64 v[185:186], v[108:109], s[14:15], -v[185:186]
	v_mul_f64 v[197:198], v[62:63], s[30:31]
	v_add_f64 v[30:31], v[30:31], v[58:59]
	v_add_f64 v[28:29], v[28:29], v[56:57]
	v_fma_f64 v[56:57], v[80:81], s[16:17], v[154:155]
	v_add_f64 v[58:59], v[158:159], -v[173:174]
	v_add_f64 v[80:81], v[167:168], v[156:157]
	v_fma_f64 v[156:157], v[120:121], s[6:7], v[191:192]
	v_fma_f64 v[158:159], v[60:61], s[16:17], v[42:43]
	v_fma_f64 v[167:168], v[134:135], s[14:15], -v[189:190]
	v_fma_f64 v[154:155], v[60:61], s[6:7], -v[187:188]
	v_fma_f64 v[42:43], v[60:61], s[16:17], -v[42:43]
	v_fma_f64 v[173:174], v[120:121], s[16:17], v[193:194]
	v_fma_f64 v[187:188], v[60:61], s[14:15], v[195:196]
	v_fma_f64 v[193:194], v[60:61], s[14:15], -v[195:196]
	v_add_f64 v[195:196], v[237:238], v[221:222]
	v_add_f64 v[221:222], v[239:240], v[223:224]
	v_fma_f64 v[223:224], v[134:135], s[4:5], -v[199:200]
	v_fma_f64 v[199:200], v[134:135], s[4:5], v[199:200]
	v_mul_f64 v[207:208], v[144:145], s[28:29]
	v_add_f64 v[181:182], v[22:23], v[181:182]
	v_mul_f64 v[201:202], v[102:103], s[26:27]
	v_mul_f64 v[211:212], v[102:103], s[36:37]
	v_mul_f64 v[205:206], v[146:147], s[36:37]
	v_add_f64 v[30:31], v[30:31], v[50:51]
	v_add_f64 v[28:29], v[28:29], v[48:49]
	v_fma_f64 v[48:49], v[134:135], s[14:15], v[189:190]
	v_add_f64 v[50:51], v[20:21], v[171:172]
	v_add_f64 v[189:190], v[22:23], v[227:228]
	;; [unrolled: 1-line block ×3, first 2 shown]
	v_fma_f64 v[171:172], v[108:109], s[4:5], v[40:41]
	v_fma_f64 v[40:41], v[108:109], s[4:5], -v[40:41]
	v_add_f64 v[154:155], v[154:155], v[169:170]
	v_add_f64 v[42:43], v[42:43], v[177:178]
	;; [unrolled: 1-line block ×3, first 2 shown]
	v_fma_f64 v[229:230], v[108:109], s[6:7], v[203:204]
	v_add_f64 v[187:188], v[187:188], v[231:232]
	v_fma_f64 v[169:170], v[72:73], s[4:5], -v[219:220]
	v_add_f64 v[167:168], v[167:168], v[221:222]
	v_fma_f64 v[177:178], v[72:73], s[4:5], v[219:220]
	v_fma_f64 v[179:180], v[72:73], s[18:19], -v[34:35]
	v_fma_f64 v[237:238], v[66:67], s[20:21], v[175:176]
	v_fma_f64 v[34:35], v[72:73], s[18:19], v[34:35]
	v_mul_f64 v[209:210], v[138:139], s[36:37]
	v_mul_f64 v[225:226], v[146:147], s[38:39]
	v_fma_f64 v[191:192], v[120:121], s[14:15], -v[197:198]
	v_add_f64 v[30:31], v[30:31], v[54:55]
	v_add_f64 v[28:29], v[28:29], v[52:53]
	v_fma_f64 v[52:53], v[66:67], s[20:21], -v[175:176]
	v_add_f64 v[50:51], v[156:157], v[50:51]
	v_add_f64 v[156:157], v[158:159], v[189:190]
	;; [unrolled: 1-line block ×3, first 2 shown]
	v_fma_f64 v[175:176], v[64:65], s[4:5], -v[217:218]
	v_fma_f64 v[189:190], v[64:65], s[18:19], v[32:33]
	v_fma_f64 v[32:33], v[64:65], s[18:19], -v[32:33]
	v_add_f64 v[154:155], v[185:186], v[154:155]
	v_add_f64 v[40:41], v[40:41], v[42:43]
	;; [unrolled: 1-line block ×5, first 2 shown]
	v_fma_f64 v[241:242], v[64:65], s[16:17], v[207:208]
	v_add_f64 v[165:166], v[165:166], v[195:196]
	v_add_f64 v[195:196], v[20:21], v[233:234]
	;; [unrolled: 1-line block ×3, first 2 shown]
	v_fma_f64 v[158:159], v[108:109], s[6:7], -v[203:204]
	v_add_f64 v[167:168], v[169:170], v[167:168]
	v_fma_f64 v[169:170], v[74:75], s[6:7], -v[211:212]
	v_fma_f64 v[173:174], v[66:67], s[6:7], -v[205:206]
	v_add_f64 v[30:31], v[30:31], v[46:47]
	v_add_f64 v[28:29], v[28:29], v[44:45]
	v_mul_f64 v[215:216], v[120:121], s[4:5]
	v_add_f64 v[46:47], v[48:49], v[50:51]
	v_add_f64 v[50:51], v[171:172], v[156:157]
	;; [unrolled: 1-line block ×9, first 2 shown]
	v_mul_f64 v[171:172], v[152:153], s[24:25]
	v_add_f64 v[32:33], v[32:33], v[40:41]
	v_mul_f64 v[40:41], v[152:153], s[8:9]
	v_add_f64 v[34:35], v[34:35], v[58:59]
	v_fma_f64 v[175:176], v[74:75], s[6:7], v[211:212]
	v_mul_f64 v[152:153], v[152:153], s[26:27]
	v_mul_f64 v[213:214], v[86:87], s[28:29]
	v_fma_f64 v[54:55], v[134:135], s[6:7], -v[209:210]
	v_add_f64 v[44:45], v[20:21], v[183:184]
	v_add_f64 v[80:81], v[20:21], v[80:81]
	;; [unrolled: 1-line block ×4, first 2 shown]
	v_fma_f64 v[36:37], v[74:75], s[20:21], v[201:202]
	v_add_f64 v[38:39], v[177:178], v[46:47]
	v_fma_f64 v[46:47], v[66:67], s[6:7], v[205:206]
	v_add_f64 v[50:51], v[189:190], v[50:51]
	v_add_f64 v[160:161], v[179:180], v[160:161]
	v_add_f64 v[20:21], v[20:21], v[78:79]
	v_add_f64 v[78:79], v[191:192], v[195:196]
	v_mul_f64 v[58:59], v[120:121], s[20:21]
	v_add_f64 v[82:83], v[241:242], v[82:83]
	v_fma_f64 v[177:178], v[66:67], s[18:19], v[225:226]
	v_add_f64 v[158:159], v[158:159], v[163:164]
	v_fma_f64 v[179:180], v[64:65], s[16:17], -v[207:208]
	v_mul_f64 v[62:63], v[62:63], s[24:25]
	v_mul_f64 v[163:164], v[144:145], s[26:27]
	v_fma_f64 v[181:182], v[120:121], s[14:15], v[197:198]
	v_add_f64 v[32:33], v[173:174], v[32:33]
	v_add_f64 v[175:176], v[175:176], v[34:35]
	v_mul_f64 v[34:35], v[150:151], s[28:29]
	v_add_f64 v[142:143], v[142:143], -v[152:153]
	v_add_f64 v[52:53], v[52:53], v[154:155]
	v_mul_f64 v[154:155], v[134:135], s[16:17]
	v_add_f64 v[40:41], v[114:115], -v[40:41]
	v_add_f64 v[88:89], v[215:216], v[88:89]
	v_add_f64 v[36:37], v[36:37], v[38:39]
	v_mul_f64 v[38:39], v[148:149], s[26:27]
	v_add_f64 v[46:47], v[46:47], v[50:51]
	v_add_f64 v[160:161], v[169:170], v[160:161]
	v_mul_f64 v[169:170], v[124:125], s[26:27]
	s_mov_b32 s27, 0x3fedeba7
	v_fma_f64 v[50:51], v[60:61], s[18:19], v[171:172]
	v_mul_f64 v[173:174], v[150:151], s[26:27]
	v_mul_f64 v[150:151], v[150:151], s[24:25]
	v_fma_f64 v[60:61], v[60:61], s[18:19], -v[171:172]
	v_add_f64 v[54:55], v[54:55], v[78:79]
	v_fma_f64 v[78:79], v[72:73], s[16:17], -v[213:214]
	v_add_f64 v[82:83], v[177:178], v[82:83]
	v_mul_f64 v[177:178], v[134:135], s[18:19]
	v_add_f64 v[58:59], v[58:59], v[132:133]
	v_mul_f64 v[138:139], v[138:139], s[26:27]
	v_add_f64 v[158:159], v[179:180], v[158:159]
	v_fma_f64 v[179:180], v[120:121], s[18:19], v[62:63]
	v_fma_f64 v[62:63], v[120:121], s[18:19], -v[62:63]
	v_add_f64 v[44:45], v[181:182], v[44:45]
	v_mul_f64 v[181:182], v[144:145], s[30:31]
	v_add_f64 v[56:57], v[142:143], v[56:57]
	v_mul_f64 v[171:172], v[72:73], s[20:21]
	v_mul_f64 v[144:145], v[144:145], s[36:37]
	v_add_f64 v[34:35], v[110:111], -v[34:35]
	v_add_f64 v[22:23], v[40:41], v[22:23]
	v_add_f64 v[84:85], v[154:155], v[84:85]
	v_add_f64 v[20:21], v[88:89], v[20:21]
	v_fma_f64 v[183:184], v[134:135], s[6:7], v[209:210]
	v_fma_f64 v[120:121], v[108:109], s[20:21], v[173:174]
	v_add_f64 v[140:141], v[140:141], -v[150:151]
	v_fma_f64 v[108:109], v[108:109], s[20:21], -v[173:174]
	v_add_f64 v[60:61], v[60:61], v[70:71]
	v_add_f64 v[54:55], v[78:79], v[54:55]
	v_mul_f64 v[78:79], v[72:73], s[14:15]
	v_add_f64 v[126:127], v[177:178], v[126:127]
	v_add_f64 v[58:59], v[58:59], v[80:81]
	v_fma_f64 v[70:71], v[134:135], s[20:21], -v[138:139]
	v_fma_f64 v[134:135], v[134:135], s[20:21], v[138:139]
	v_add_f64 v[42:43], v[179:180], v[42:43]
	v_mul_f64 v[86:87], v[86:87], s[36:37]
	v_add_f64 v[48:49], v[50:51], v[48:49]
	v_add_f64 v[62:63], v[62:63], v[156:157]
	v_mul_f64 v[138:139], v[146:147], s[34:35]
	v_add_f64 v[136:137], v[136:137], -v[181:182]
	v_add_f64 v[26:27], v[30:31], v[26:27]
	v_add_f64 v[24:25], v[28:29], v[24:25]
	v_mul_f64 v[152:153], v[74:75], s[14:15]
	v_mul_f64 v[50:51], v[146:147], s[22:23]
	;; [unrolled: 1-line block ×3, first 2 shown]
	v_add_f64 v[100:101], v[100:101], -v[163:164]
	v_add_f64 v[22:23], v[34:35], v[22:23]
	v_add_f64 v[56:57], v[140:141], v[56:57]
	v_fma_f64 v[140:141], v[64:65], s[6:7], -v[144:145]
	v_add_f64 v[60:61], v[108:109], v[60:61]
	v_add_f64 v[34:35], v[171:172], v[90:91]
	v_add_f64 v[20:21], v[84:85], v[20:21]
	v_mul_f64 v[132:133], v[74:75], s[16:17]
	v_add_f64 v[78:79], v[78:79], v[116:117]
	v_add_f64 v[28:29], v[126:127], v[58:59]
	v_mul_f64 v[177:178], v[102:103], s[38:39]
	v_mul_f64 v[102:103], v[102:103], s[8:9]
	v_fma_f64 v[116:117], v[72:73], s[6:7], v[86:87]
	v_add_f64 v[30:31], v[134:135], v[42:43]
	v_fma_f64 v[189:190], v[72:73], s[16:17], v[213:214]
	v_add_f64 v[42:43], v[183:184], v[44:45]
	v_fma_f64 v[243:244], v[64:65], s[4:5], v[217:218]
	v_fma_f64 v[64:65], v[64:65], s[6:7], v[144:145]
	v_add_f64 v[48:49], v[120:121], v[48:49]
	v_fma_f64 v[72:73], v[72:73], s[6:7], -v[86:87]
	v_add_f64 v[62:63], v[70:71], v[62:63]
	v_mul_f64 v[185:186], v[76:77], s[18:19]
	v_add_f64 v[90:91], v[128:129], -v[138:139]
	v_add_f64 v[18:19], v[26:27], v[18:19]
	v_add_f64 v[56:57], v[136:137], v[56:57]
	;; [unrolled: 1-line block ×3, first 2 shown]
	v_fma_f64 v[239:240], v[74:75], s[20:21], -v[201:202]
	v_mul_f64 v[114:115], v[124:125], s[34:35]
	v_mul_f64 v[179:180], v[148:149], s[24:25]
	v_fma_f64 v[84:85], v[66:67], s[4:5], -v[146:147]
	v_add_f64 v[60:61], v[140:141], v[60:61]
	v_add_f64 v[50:51], v[112:113], -v[50:51]
	v_add_f64 v[22:23], v[100:101], v[22:23]
	v_add_f64 v[100:101], v[152:153], v[104:105]
	;; [unrolled: 1-line block ×3, first 2 shown]
	v_mul_f64 v[142:143], v[76:77], s[6:7]
	v_mul_f64 v[80:81], v[148:149], s[36:37]
	v_add_f64 v[120:121], v[132:133], v[122:123]
	v_add_f64 v[24:25], v[78:79], v[28:29]
	v_mul_f64 v[150:151], v[148:149], s[0:1]
	v_fma_f64 v[187:188], v[66:67], s[18:19], -v[225:226]
	v_mul_f64 v[58:59], v[148:149], s[22:23]
	v_mul_f64 v[70:71], v[124:125], s[22:23]
	v_fma_f64 v[86:87], v[74:75], s[4:5], v[102:103]
	v_add_f64 v[26:27], v[116:117], v[30:31]
	v_mul_f64 v[108:109], v[124:125], s[0:1]
	v_fma_f64 v[44:45], v[74:75], s[18:19], v[177:178]
	v_add_f64 v[28:29], v[189:190], v[42:43]
	v_mul_f64 v[173:174], v[148:149], s[34:35]
	v_add_f64 v[165:166], v[243:244], v[165:166]
	v_fma_f64 v[181:182], v[74:75], s[18:19], -v[177:178]
	v_fma_f64 v[42:43], v[66:67], s[4:5], v[146:147]
	v_add_f64 v[48:49], v[64:65], v[48:49]
	v_fma_f64 v[64:65], v[74:75], s[4:5], -v[102:103]
	v_add_f64 v[62:63], v[72:73], v[62:63]
	v_add_f64 v[56:57], v[90:91], v[56:57]
	;; [unrolled: 1-line block ×6, first 2 shown]
	v_fma_f64 v[40:41], v[76:77], s[16:17], -v[114:115]
	v_add_f64 v[60:61], v[84:85], v[60:61]
	v_add_f64 v[84:85], v[106:107], -v[179:180]
	v_add_f64 v[50:51], v[50:51], v[22:23]
	v_add_f64 v[20:21], v[100:101], v[20:21]
	v_fma_f64 v[114:115], v[76:77], s[16:17], v[114:115]
	v_fma_f64 v[154:155], v[68:69], s[20:21], v[38:39]
	v_fma_f64 v[38:39], v[68:69], s[20:21], -v[38:39]
	v_add_f64 v[78:79], v[130:131], -v[80:81]
	v_add_f64 v[80:81], v[142:143], v[118:119]
	v_add_f64 v[24:25], v[120:121], v[24:25]
	v_fma_f64 v[30:31], v[68:69], s[4:5], -v[150:151]
	v_add_f64 v[34:35], v[187:188], v[158:159]
	v_fma_f64 v[72:73], v[68:69], s[14:15], -v[58:59]
	v_fma_f64 v[74:75], v[76:77], s[14:15], v[70:71]
	v_add_f64 v[86:87], v[86:87], v[26:27]
	v_fma_f64 v[66:67], v[76:77], s[4:5], v[108:109]
	v_add_f64 v[28:29], v[44:45], v[28:29]
	v_fma_f64 v[88:89], v[76:77], s[20:21], -v[169:170]
	v_fma_f64 v[169:170], v[76:77], s[20:21], v[169:170]
	v_fma_f64 v[110:111], v[68:69], s[16:17], v[173:174]
	v_fma_f64 v[173:174], v[68:69], s[16:17], -v[173:174]
	v_add_f64 v[165:166], v[237:238], v[165:166]
	v_fma_f64 v[156:157], v[68:69], s[4:5], v[150:151]
	v_fma_f64 v[44:45], v[76:77], s[4:5], -v[108:109]
	v_add_f64 v[54:55], v[181:182], v[54:55]
	v_fma_f64 v[58:59], v[68:69], s[14:15], v[58:59]
	v_add_f64 v[48:49], v[42:43], v[48:49]
	v_fma_f64 v[68:69], v[76:77], s[14:15], -v[70:71]
	v_add_f64 v[62:63], v[64:65], v[62:63]
	v_add_f64 v[10:11], v[98:99], v[10:11]
	;; [unrolled: 1-line block ×23, first 2 shown]
	v_mad_u32_u24 v52, 0xc0, v94, v162
	ds_write_b128 v52, v[8:11]
	ds_write_b128 v52, v[40:43] offset:16
	ds_write_b128 v52, v[36:39] offset:32
	ds_write_b128 v52, v[32:35] offset:48
	ds_write_b128 v52, v[28:31] offset:64
	ds_write_b128 v52, v[24:27] offset:80
	ds_write_b128 v52, v[16:19] offset:96
	ds_write_b128 v52, v[12:15] offset:112
	ds_write_b128 v52, v[20:23] offset:128
	ds_write_b128 v52, v[44:47] offset:144
	ds_write_b128 v52, v[48:51] offset:160
	ds_write_b128 v52, v[0:3] offset:176
	ds_write_b128 v52, v[4:7] offset:192
.LBB0_23:
	s_or_b32 exec_lo, exec_lo, s33
	v_and_b32_e32 v8, 0xff, v94
	v_mov_b32_e32 v9, 10
	s_waitcnt lgkmcnt(0)
	s_barrier
	buffer_gl0_inv
	v_mul_lo_u16 v8, 0x4f, v8
	s_mov_b32 s0, 0xf8bb580b
	s_mov_b32 s6, 0x8764f0ba
	;; [unrolled: 1-line block ×4, first 2 shown]
	v_lshrrev_b16 v95, 10, v8
	s_mov_b32 s8, 0x8eee2c13
	s_mov_b32 s16, 0xd9c712b6
	s_mov_b32 s9, 0xbfed1bb4
	s_mov_b32 s17, 0x3fda9628
	v_mul_lo_u16 v8, v95, 13
	s_mov_b32 s18, 0x43842ef
	s_mov_b32 s22, 0x640f44db
	;; [unrolled: 1-line block ×4, first 2 shown]
	v_sub_nc_u16 v98, v94, v8
	s_mov_b32 s24, 0xbb3a28a1
	s_mov_b32 s28, 0x7f775887
	;; [unrolled: 1-line block ×4, first 2 shown]
	v_mul_u32_u24_sdwa v8, v98, v9 dst_sel:DWORD dst_unused:UNUSED_PAD src0_sel:BYTE_0 src1_sel:DWORD
	s_mov_b32 s30, 0xfd768dbf
	s_mov_b32 s36, 0x9bcd5057
	;; [unrolled: 1-line block ×4, first 2 shown]
	v_lshlrev_b32_e32 v8, 4, v8
	s_mov_b32 s5, 0x3fe14ced
	s_mov_b32 s4, s0
	;; [unrolled: 1-line block ×4, first 2 shown]
	s_clause 0x9
	global_load_dwordx4 v[12:15], v8, s[12:13]
	global_load_dwordx4 v[36:39], v8, s[12:13] offset:144
	global_load_dwordx4 v[32:35], v8, s[12:13] offset:16
	;; [unrolled: 1-line block ×9, first 2 shown]
	ds_read_b128 v[8:11], v162
	ds_read_b128 v[80:83], v162 offset:1664
	ds_read_b128 v[72:75], v162 offset:3328
	;; [unrolled: 1-line block ×10, first 2 shown]
	s_mov_b32 s21, 0x3fefac9e
	s_mov_b32 s35, 0x3fd207e7
	;; [unrolled: 1-line block ×6, first 2 shown]
	v_mov_b32_e32 v161, 0x8f0
	v_mov_b32_e32 v251, 4
	s_waitcnt vmcnt(0) lgkmcnt(0)
	s_barrier
	buffer_gl0_inv
	v_mul_f64 v[99:100], v[82:83], v[14:15]
	v_mul_f64 v[14:15], v[80:81], v[14:15]
	;; [unrolled: 1-line block ×20, first 2 shown]
	v_fma_f64 v[80:81], v[80:81], v[12:13], v[99:100]
	v_fma_f64 v[12:13], v[82:83], v[12:13], -v[14:15]
	v_fma_f64 v[82:83], v[90:91], v[36:37], -v[101:102]
	v_fma_f64 v[14:15], v[72:73], v[32:33], v[103:104]
	v_fma_f64 v[72:73], v[88:89], v[36:37], v[38:39]
	v_fma_f64 v[32:33], v[74:75], v[32:33], -v[34:35]
	v_fma_f64 v[34:35], v[84:85], v[48:49], v[105:106]
	v_fma_f64 v[36:37], v[86:87], v[48:49], -v[50:51]
	;; [unrolled: 2-line block ×7, first 2 shown]
	v_fma_f64 v[22:23], v[54:55], v[16:17], -v[117:118]
	v_fma_f64 v[16:17], v[52:53], v[16:17], v[18:19]
	v_add_f64 v[18:19], v[8:9], v[80:81]
	v_add_f64 v[48:49], v[10:11], v[12:13]
	v_add_f64 v[50:51], v[12:13], -v[82:83]
	v_add_f64 v[12:13], v[12:13], v[82:83]
	v_add_f64 v[52:53], v[80:81], v[72:73]
	v_add_f64 v[54:55], v[80:81], -v[72:73]
	v_add_f64 v[56:57], v[14:15], v[34:35]
	v_add_f64 v[62:63], v[14:15], -v[34:35]
	v_add_f64 v[58:59], v[32:33], -v[36:37]
	v_add_f64 v[60:61], v[32:33], v[36:37]
	v_add_f64 v[64:65], v[38:39], v[46:47]
	;; [unrolled: 1-line block ×3, first 2 shown]
	v_add_f64 v[70:71], v[44:45], -v[40:41]
	v_add_f64 v[68:69], v[38:39], -v[46:47]
	v_add_f64 v[74:75], v[42:43], v[30:31]
	v_add_f64 v[76:77], v[28:29], v[24:25]
	v_add_f64 v[78:79], v[28:29], -v[24:25]
	v_add_f64 v[80:81], v[42:43], -v[30:31]
	;; [unrolled: 1-line block ×3, first 2 shown]
	v_add_f64 v[88:89], v[20:21], v[22:23]
	v_add_f64 v[86:87], v[26:27], v[16:17]
	v_add_f64 v[90:91], v[26:27], -v[16:17]
	v_add_f64 v[14:15], v[18:19], v[14:15]
	v_add_f64 v[18:19], v[48:49], v[32:33]
	v_mul_f64 v[32:33], v[50:51], s[0:1]
	v_mul_f64 v[48:49], v[12:13], s[6:7]
	;; [unrolled: 1-line block ×20, first 2 shown]
	v_add_f64 v[14:15], v[14:15], v[38:39]
	v_add_f64 v[18:19], v[18:19], v[44:45]
	v_fma_f64 v[38:39], v[52:53], s[6:7], v[32:33]
	v_fma_f64 v[44:45], v[54:55], s[4:5], v[48:49]
	v_fma_f64 v[32:33], v[52:53], s[6:7], -v[32:33]
	v_fma_f64 v[48:49], v[54:55], s[0:1], v[48:49]
	v_fma_f64 v[177:178], v[52:53], s[16:17], v[99:100]
	;; [unrolled: 1-line block ×3, first 2 shown]
	v_mul_f64 v[127:128], v[70:71], s[18:19]
	v_mul_f64 v[129:130], v[66:67], s[22:23]
	;; [unrolled: 1-line block ×14, first 2 shown]
	v_add_f64 v[14:15], v[14:15], v[42:43]
	v_add_f64 v[18:19], v[18:19], v[28:29]
	v_mul_f64 v[78:79], v[78:79], s[14:15]
	v_mul_f64 v[151:152], v[76:77], s[28:29]
	;; [unrolled: 1-line block ×16, first 2 shown]
	v_fma_f64 v[99:100], v[52:53], s[16:17], -v[99:100]
	v_fma_f64 v[181:182], v[52:53], s[22:23], v[103:104]
	v_fma_f64 v[183:184], v[54:55], s[20:21], v[105:106]
	v_fma_f64 v[103:104], v[52:53], s[22:23], -v[103:104]
	v_fma_f64 v[185:186], v[52:53], s[28:29], v[107:108]
	v_fma_f64 v[187:188], v[54:55], s[26:27], v[109:110]
	;; [unrolled: 3-line block ×4, first 2 shown]
	v_fma_f64 v[105:106], v[54:55], s[18:19], v[105:106]
	v_fma_f64 v[101:102], v[54:55], s[8:9], v[101:102]
	v_add_f64 v[14:15], v[14:15], v[26:27]
	v_add_f64 v[18:19], v[18:19], v[20:21]
	v_fma_f64 v[52:53], v[56:57], s[16:17], v[111:112]
	v_fma_f64 v[54:55], v[62:63], s[14:15], v[113:114]
	v_add_f64 v[20:21], v[8:9], v[38:39]
	v_add_f64 v[26:27], v[10:11], v[44:45]
	v_fma_f64 v[111:112], v[56:57], s[16:17], -v[111:112]
	v_fma_f64 v[113:114], v[62:63], s[8:9], v[113:114]
	v_fma_f64 v[193:194], v[56:57], s[28:29], v[115:116]
	;; [unrolled: 1-line block ×3, first 2 shown]
	v_add_f64 v[32:33], v[8:9], v[32:33]
	v_add_f64 v[38:39], v[10:11], v[48:49]
	;; [unrolled: 1-line block ×4, first 2 shown]
	v_fma_f64 v[115:116], v[56:57], s[28:29], -v[115:116]
	v_fma_f64 v[117:118], v[62:63], s[24:25], v[117:118]
	v_fma_f64 v[197:198], v[56:57], s[36:37], v[119:120]
	v_fma_f64 v[199:200], v[62:63], s[30:31], v[121:122]
	v_fma_f64 v[119:120], v[56:57], s[36:37], -v[119:120]
	v_fma_f64 v[121:122], v[62:63], s[34:35], v[121:122]
	v_fma_f64 v[201:202], v[56:57], s[22:23], v[123:124]
	v_fma_f64 v[203:204], v[62:63], s[18:19], v[125:126]
	v_fma_f64 v[123:124], v[56:57], s[22:23], -v[123:124]
	v_fma_f64 v[125:126], v[62:63], s[20:21], v[125:126]
	v_fma_f64 v[205:206], v[56:57], s[6:7], v[58:59]
	v_fma_f64 v[207:208], v[62:63], s[0:1], v[60:61]
	v_fma_f64 v[56:57], v[56:57], s[6:7], -v[58:59]
	v_fma_f64 v[58:59], v[62:63], s[4:5], v[60:61]
	v_fma_f64 v[60:61], v[64:65], s[22:23], v[127:128]
	v_fma_f64 v[62:63], v[68:69], s[20:21], v[129:130]
	v_fma_f64 v[127:128], v[64:65], s[22:23], -v[127:128]
	v_fma_f64 v[129:130], v[68:69], s[18:19], v[129:130]
	v_fma_f64 v[209:210], v[64:65], s[36:37], v[131:132]
	v_fma_f64 v[211:212], v[68:69], s[30:31], v[133:134]
	v_fma_f64 v[131:132], v[64:65], s[36:37], -v[131:132]
	v_fma_f64 v[133:134], v[68:69], s[34:35], v[133:134]
	v_fma_f64 v[213:214], v[64:65], s[16:17], v[135:136]
	v_fma_f64 v[215:216], v[68:69], s[8:9], v[137:138]
	v_fma_f64 v[135:136], v[64:65], s[16:17], -v[135:136]
	v_fma_f64 v[137:138], v[68:69], s[14:15], v[137:138]
	v_fma_f64 v[217:218], v[64:65], s[6:7], v[139:140]
	v_fma_f64 v[219:220], v[68:69], s[4:5], v[141:142]
	v_fma_f64 v[139:140], v[64:65], s[6:7], -v[139:140]
	v_fma_f64 v[141:142], v[68:69], s[0:1], v[141:142]
	v_fma_f64 v[221:222], v[64:65], s[28:29], v[70:71]
	v_fma_f64 v[223:224], v[68:69], s[26:27], v[66:67]
	v_fma_f64 v[64:65], v[64:65], s[28:29], -v[70:71]
	v_fma_f64 v[66:67], v[68:69], s[24:25], v[66:67]
	v_fma_f64 v[68:69], v[74:75], s[28:29], v[143:144]
	v_fma_f64 v[70:71], v[74:75], s[28:29], -v[143:144]
	v_fma_f64 v[143:144], v[74:75], s[22:23], v[145:146]
	v_fma_f64 v[145:146], v[74:75], s[22:23], -v[145:146]
	;; [unrolled: 2-line block ×5, first 2 shown]
	v_fma_f64 v[78:79], v[80:81], s[26:27], v[151:152]
	v_fma_f64 v[151:152], v[80:81], s[24:25], v[151:152]
	;; [unrolled: 1-line block ×11, first 2 shown]
	v_fma_f64 v[42:43], v[86:87], s[36:37], -v[159:160]
	v_fma_f64 v[80:81], v[86:87], s[6:7], v[163:164]
	v_fma_f64 v[159:160], v[86:87], s[6:7], -v[163:164]
	v_fma_f64 v[163:164], v[86:87], s[28:29], v[165:166]
	;; [unrolled: 2-line block ×5, first 2 shown]
	v_fma_f64 v[169:170], v[90:91], s[30:31], v[169:170]
	v_fma_f64 v[243:244], v[90:91], s[0:1], v[171:172]
	;; [unrolled: 1-line block ×9, first 2 shown]
	v_add_f64 v[90:91], v[8:9], v[99:100]
	v_add_f64 v[99:100], v[8:9], v[181:182]
	;; [unrolled: 1-line block ×104, first 2 shown]
	v_mul_u32_u24_sdwa v52, v95, v161 dst_sel:DWORD dst_unused:UNUSED_PAD src0_sel:WORD_0 src1_sel:DWORD
	v_lshlrev_b32_sdwa v53, v251, v98 dst_sel:DWORD dst_unused:UNUSED_PAD src0_sel:DWORD src1_sel:BYTE_0
	v_cmp_gt_u32_e64 s0, 39, v94
	v_add3_u32 v52, 0, v52, v53
	ds_write_b128 v52, v[20:23] offset:208
	ds_write_b128 v52, v[24:27] offset:416
	ds_write_b128 v52, v[28:31] offset:624
	ds_write_b128 v52, v[32:35] offset:832
	ds_write_b128 v52, v[40:43] offset:1040
	ds_write_b128 v52, v[44:47] offset:1248
	ds_write_b128 v52, v[36:39] offset:1456
	ds_write_b128 v52, v[8:11] offset:1664
	ds_write_b128 v52, v[12:15] offset:1872
	ds_write_b128 v52, v[16:19] offset:2080
	ds_write_b128 v52, v[48:51]
	s_waitcnt lgkmcnt(0)
	s_barrier
	buffer_gl0_inv
	ds_read_b128 v[32:35], v162
	ds_read_b128 v[60:63], v162 offset:2288
	ds_read_b128 v[48:51], v162 offset:4576
	;; [unrolled: 1-line block ×7, first 2 shown]
                                        ; implicit-def: $vgpr26_vgpr27
                                        ; implicit-def: $vgpr30_vgpr31
                                        ; implicit-def: $vgpr22_vgpr23
	s_and_saveexec_b32 s1, s0
	s_cbranch_execz .LBB0_25
; %bb.24:
	ds_read_b128 v[8:11], v162 offset:1664
	ds_read_b128 v[12:15], v162 offset:3952
	;; [unrolled: 1-line block ×8, first 2 shown]
.LBB0_25:
	s_or_b32 exec_lo, exec_lo, s1
	v_mul_u32_u24_e32 v64, 7, v94
	s_mov_b32 s4, 0x667f3bcd
	s_mov_b32 s5, 0xbfe6a09e
	;; [unrolled: 1-line block ×4, first 2 shown]
	v_lshlrev_b32_e32 v64, 4, v64
	v_add_co_u32 v68, s1, s12, v64
	v_add_co_ci_u32_e64 v69, null, s13, 0, s1
	v_add_co_u32 v80, s1, 0x800, v68
	v_add_co_ci_u32_e64 v81, s1, 0, v69, s1
	v_add_co_u32 v84, s1, 0x820, v68
	v_add_co_ci_u32_e64 v85, s1, 0, v69, s1
	;; [unrolled: 2-line block ×3, first 2 shown]
	s_clause 0x6
	global_load_dwordx4 v[64:67], v[80:81], off offset:32
	global_load_dwordx4 v[68:71], v[84:85], off offset:16
	;; [unrolled: 1-line block ×7, first 2 shown]
	s_waitcnt vmcnt(0) lgkmcnt(0)
	s_barrier
	buffer_gl0_inv
	v_mul_f64 v[100:101], v[50:51], v[70:71]
	v_mul_f64 v[70:71], v[48:49], v[70:71]
	;; [unrolled: 1-line block ×14, first 2 shown]
	v_fma_f64 v[48:49], v[48:49], v[68:69], v[100:101]
	v_fma_f64 v[50:51], v[50:51], v[68:69], -v[70:71]
	v_fma_f64 v[52:53], v[52:53], v[72:73], v[102:103]
	v_fma_f64 v[54:55], v[54:55], v[72:73], -v[74:75]
	;; [unrolled: 2-line block ×7, first 2 shown]
	v_add_f64 v[52:53], v[32:33], -v[52:53]
	v_add_f64 v[54:55], v[34:35], -v[54:55]
	;; [unrolled: 1-line block ×8, first 2 shown]
	v_fma_f64 v[32:33], v[32:33], 2.0, -v[52:53]
	v_fma_f64 v[34:35], v[34:35], 2.0, -v[54:55]
	;; [unrolled: 1-line block ×6, first 2 shown]
	v_add_f64 v[58:59], v[52:53], v[58:59]
	v_add_f64 v[56:57], v[54:55], -v[56:57]
	v_fma_f64 v[36:37], v[36:37], 2.0, -v[40:41]
	v_fma_f64 v[38:39], v[38:39], 2.0, -v[42:43]
	v_add_f64 v[42:43], v[44:45], v[42:43]
	v_add_f64 v[40:41], v[46:47], -v[40:41]
	v_add_f64 v[64:65], v[32:33], -v[48:49]
	;; [unrolled: 1-line block ×3, first 2 shown]
	v_fma_f64 v[68:69], v[52:53], 2.0, -v[58:59]
	v_fma_f64 v[70:71], v[54:55], 2.0, -v[56:57]
	v_add_f64 v[36:37], v[60:61], -v[36:37]
	v_add_f64 v[38:39], v[62:63], -v[38:39]
	v_fma_f64 v[48:49], v[44:45], 2.0, -v[42:43]
	v_fma_f64 v[46:47], v[46:47], 2.0, -v[40:41]
	v_fma_f64 v[44:45], v[42:43], s[6:7], v[58:59]
	v_fma_f64 v[50:51], v[40:41], s[6:7], v[56:57]
	v_fma_f64 v[32:33], v[32:33], 2.0, -v[64:65]
	v_fma_f64 v[72:73], v[34:35], 2.0, -v[66:67]
	;; [unrolled: 1-line block ×4, first 2 shown]
	v_fma_f64 v[60:61], v[48:49], s[4:5], v[68:69]
	v_fma_f64 v[62:63], v[46:47], s[4:5], v[70:71]
	v_add_f64 v[34:35], v[64:65], v[38:39]
	v_add_f64 v[36:37], v[66:67], -v[36:37]
	v_fma_f64 v[38:39], v[40:41], s[6:7], v[44:45]
	v_fma_f64 v[40:41], v[42:43], s[4:5], v[50:51]
	v_add_f64 v[42:43], v[32:33], -v[52:53]
	v_add_f64 v[44:45], v[72:73], -v[54:55]
	v_fma_f64 v[46:47], v[46:47], s[6:7], v[60:61]
	v_fma_f64 v[48:49], v[48:49], s[4:5], v[62:63]
	v_fma_f64 v[50:51], v[64:65], 2.0, -v[34:35]
	v_fma_f64 v[52:53], v[66:67], 2.0, -v[36:37]
	;; [unrolled: 1-line block ×8, first 2 shown]
	v_mov_b32_e32 v33, 0
	ds_write_b128 v162, v[34:37] offset:13728
	ds_write_b128 v162, v[50:53] offset:4576
	;; [unrolled: 1-line block ×5, first 2 shown]
	ds_write_b128 v162, v[58:61]
	ds_write_b128 v162, v[62:65] offset:2288
	ds_write_b128 v162, v[38:41] offset:16016
	s_and_saveexec_b32 s1, s0
	s_cbranch_execz .LBB0_27
; %bb.26:
	v_add_nc_u32_e32 v32, 0x68, v94
	v_subrev_nc_u32_e32 v34, 39, v94
	v_cndmask_b32_e64 v32, v34, v32, s0
	v_mul_i32_i24_e32 v32, 7, v32
	v_lshlrev_b64 v[32:33], 4, v[32:33]
	v_add_co_u32 v32, s0, s12, v32
	v_add_co_ci_u32_e64 v33, s0, s13, v33, s0
	v_add_co_u32 v52, s0, 0x820, v32
	v_add_co_ci_u32_e64 v53, s0, 0, v33, s0
	;; [unrolled: 2-line block ×4, first 2 shown]
	s_clause 0x6
	global_load_dwordx4 v[32:35], v[52:53], off offset:48
	global_load_dwordx4 v[36:39], v[52:53], off offset:16
	;; [unrolled: 1-line block ×7, first 2 shown]
	s_waitcnt vmcnt(6)
	v_mul_f64 v[60:61], v[4:5], v[34:35]
	s_waitcnt vmcnt(5)
	v_mul_f64 v[62:63], v[18:19], v[38:39]
	;; [unrolled: 2-line block ×7, first 2 shown]
	v_mul_f64 v[46:47], v[14:15], v[46:47]
	v_mul_f64 v[38:39], v[16:17], v[38:39]
	;; [unrolled: 1-line block ×7, first 2 shown]
	v_fma_f64 v[6:7], v[6:7], v[32:33], -v[60:61]
	v_fma_f64 v[16:17], v[16:17], v[36:37], v[62:63]
	v_fma_f64 v[24:25], v[24:25], v[40:41], v[64:65]
	v_fma_f64 v[14:15], v[14:15], v[44:45], -v[66:67]
	v_fma_f64 v[22:23], v[22:23], v[48:49], -v[68:69]
	v_fma_f64 v[0:1], v[0:1], v[52:53], v[70:71]
	v_fma_f64 v[28:29], v[28:29], v[56:57], v[72:73]
	;; [unrolled: 1-line block ×3, first 2 shown]
	v_fma_f64 v[18:19], v[18:19], v[36:37], -v[38:39]
	v_fma_f64 v[26:27], v[26:27], v[40:41], -v[42:43]
	v_fma_f64 v[20:21], v[20:21], v[48:49], v[50:51]
	v_fma_f64 v[4:5], v[4:5], v[32:33], v[34:35]
	v_fma_f64 v[2:3], v[2:3], v[52:53], -v[54:55]
	v_fma_f64 v[30:31], v[30:31], v[56:57], -v[58:59]
	v_add_f64 v[6:7], v[10:11], -v[6:7]
	v_add_f64 v[24:25], v[16:17], -v[24:25]
	;; [unrolled: 1-line block ×8, first 2 shown]
	v_fma_f64 v[10:11], v[10:11], 2.0, -v[6:7]
	v_add_f64 v[32:33], v[6:7], -v[24:25]
	v_fma_f64 v[16:17], v[16:17], 2.0, -v[24:25]
	v_fma_f64 v[14:15], v[14:15], 2.0, -v[22:23]
	v_add_f64 v[34:35], v[22:23], -v[28:29]
	v_fma_f64 v[0:1], v[0:1], 2.0, -v[28:29]
	v_fma_f64 v[18:19], v[18:19], 2.0, -v[26:27]
	;; [unrolled: 1-line block ×4, first 2 shown]
	v_add_f64 v[26:27], v[4:5], v[26:27]
	v_fma_f64 v[2:3], v[2:3], 2.0, -v[30:31]
	v_add_f64 v[24:25], v[20:21], v[30:31]
	v_fma_f64 v[30:31], v[6:7], 2.0, -v[32:33]
	v_add_f64 v[28:29], v[10:11], -v[18:19]
	v_fma_f64 v[18:19], v[22:23], 2.0, -v[34:35]
	v_add_f64 v[0:1], v[12:13], -v[0:1]
	v_add_f64 v[16:17], v[8:9], -v[16:17]
	;; [unrolled: 1-line block ×3, first 2 shown]
	v_fma_f64 v[20:21], v[20:21], 2.0, -v[24:25]
	v_fma_f64 v[36:37], v[4:5], 2.0, -v[26:27]
	v_fma_f64 v[2:3], v[34:35], s[6:7], v[32:33]
	v_fma_f64 v[38:39], v[24:25], s[6:7], v[26:27]
	v_fma_f64 v[42:43], v[10:11], 2.0, -v[28:29]
	v_fma_f64 v[40:41], v[18:19], s[4:5], v[30:31]
	v_add_f64 v[6:7], v[28:29], -v[0:1]
	v_fma_f64 v[44:45], v[8:9], 2.0, -v[16:17]
	v_fma_f64 v[14:15], v[14:15], 2.0, -v[22:23]
	v_fma_f64 v[8:9], v[12:13], 2.0, -v[0:1]
	v_fma_f64 v[46:47], v[20:21], s[4:5], v[36:37]
	v_add_f64 v[4:5], v[16:17], v[22:23]
	v_fma_f64 v[2:3], v[24:25], s[4:5], v[2:3]
	v_fma_f64 v[0:1], v[34:35], s[6:7], v[38:39]
	;; [unrolled: 1-line block ×3, first 2 shown]
	v_fma_f64 v[22:23], v[28:29], 2.0, -v[6:7]
	v_add_f64 v[14:15], v[42:43], -v[14:15]
	v_add_f64 v[12:13], v[44:45], -v[8:9]
	v_fma_f64 v[8:9], v[18:19], s[6:7], v[46:47]
	v_fma_f64 v[20:21], v[16:17], 2.0, -v[4:5]
	v_fma_f64 v[18:19], v[32:33], 2.0, -v[2:3]
	;; [unrolled: 1-line block ×7, first 2 shown]
	ds_write_b128 v162, v[4:7] offset:15392
	ds_write_b128 v162, v[20:23] offset:6240
	;; [unrolled: 1-line block ×8, first 2 shown]
.LBB0_27:
	s_or_b32 exec_lo, exec_lo, s1
	s_waitcnt lgkmcnt(0)
	s_barrier
	buffer_gl0_inv
	s_and_saveexec_b32 s0, vcc_lo
	s_cbranch_execz .LBB0_29
; %bb.28:
	v_mul_lo_u32 v2, s3, v96
	v_mul_lo_u32 v3, s2, v97
	v_mad_u64_u32 v[0:1], null, s2, v96, 0
	v_lshl_add_u32 v28, v94, 4, 0
	v_mov_b32_e32 v95, 0
	v_lshlrev_b64 v[8:9], 4, v[92:93]
	v_add_nc_u32_e32 v12, 0x68, v94
	v_add_nc_u32_e32 v22, 0x208, v94
	;; [unrolled: 1-line block ×3, first 2 shown]
	v_add3_u32 v1, v1, v3, v2
	v_mov_b32_e32 v13, v95
	v_lshlrev_b64 v[14:15], 4, v[94:95]
	v_mov_b32_e32 v23, v95
	v_mov_b32_e32 v25, v95
	v_lshlrev_b64 v[10:11], 4, v[0:1]
	ds_read_b128 v[0:3], v28
	ds_read_b128 v[4:7], v28 offset:1664
	v_lshlrev_b64 v[22:23], 4, v[22:23]
	v_add_co_u32 v10, vcc_lo, s10, v10
	v_add_co_ci_u32_e32 v11, vcc_lo, s11, v11, vcc_lo
	v_add_co_u32 v30, vcc_lo, v10, v8
	v_add_co_ci_u32_e32 v31, vcc_lo, v11, v9, vcc_lo
	v_lshlrev_b64 v[8:9], 4, v[12:13]
	v_add_co_u32 v10, vcc_lo, v30, v14
	v_add_co_ci_u32_e32 v11, vcc_lo, v31, v15, vcc_lo
	v_add_nc_u32_e32 v12, 0xd0, v94
	v_add_co_u32 v8, vcc_lo, v30, v8
	v_add_co_ci_u32_e32 v9, vcc_lo, v31, v9, vcc_lo
	s_waitcnt lgkmcnt(1)
	global_store_dwordx4 v[10:11], v[0:3], off
	s_waitcnt lgkmcnt(0)
	global_store_dwordx4 v[8:9], v[4:7], off
	v_lshlrev_b64 v[0:1], 4, v[12:13]
	v_add_nc_u32_e32 v8, 0x138, v94
	v_mov_b32_e32 v9, v95
	v_add_nc_u32_e32 v10, 0x1a0, v94
	v_mov_b32_e32 v11, v95
	v_add_co_u32 v16, vcc_lo, v30, v0
	v_add_co_ci_u32_e32 v17, vcc_lo, v31, v1, vcc_lo
	ds_read_b128 v[0:3], v28 offset:3328
	ds_read_b128 v[4:7], v28 offset:4992
	v_lshlrev_b64 v[18:19], 4, v[8:9]
	v_lshlrev_b64 v[20:21], 4, v[10:11]
	ds_read_b128 v[8:11], v28 offset:6656
	ds_read_b128 v[12:15], v28 offset:8320
	v_add_co_u32 v18, vcc_lo, v30, v18
	v_add_co_ci_u32_e32 v19, vcc_lo, v31, v19, vcc_lo
	v_add_co_u32 v20, vcc_lo, v30, v20
	v_add_co_ci_u32_e32 v21, vcc_lo, v31, v21, vcc_lo
	v_add_co_u32 v22, vcc_lo, v30, v22
	s_waitcnt lgkmcnt(3)
	global_store_dwordx4 v[16:17], v[0:3], off
	s_waitcnt lgkmcnt(2)
	global_store_dwordx4 v[18:19], v[4:7], off
	v_add_nc_u32_e32 v2, 0x2d8, v94
	v_mov_b32_e32 v3, v95
	v_add_co_ci_u32_e32 v23, vcc_lo, v31, v23, vcc_lo
	v_lshlrev_b64 v[0:1], 4, v[24:25]
	s_waitcnt lgkmcnt(1)
	global_store_dwordx4 v[20:21], v[8:11], off
	s_waitcnt lgkmcnt(0)
	global_store_dwordx4 v[22:23], v[12:15], off
	v_lshlrev_b64 v[8:9], 4, v[2:3]
	v_add_nc_u32_e32 v10, 0x340, v94
	v_mov_b32_e32 v11, v95
	v_add_co_u32 v20, vcc_lo, v30, v0
	v_add_co_ci_u32_e32 v21, vcc_lo, v31, v1, vcc_lo
	v_add_co_u32 v22, vcc_lo, v30, v8
	ds_read_b128 v[0:3], v28 offset:9984
	ds_read_b128 v[4:7], v28 offset:11648
	v_add_co_ci_u32_e32 v23, vcc_lo, v31, v9, vcc_lo
	v_lshlrev_b64 v[26:27], 4, v[10:11]
	ds_read_b128 v[8:11], v28 offset:13312
	ds_read_b128 v[12:15], v28 offset:14976
	;; [unrolled: 1-line block ×3, first 2 shown]
	v_add_nc_u32_e32 v24, 0x3a8, v94
	v_add_nc_u32_e32 v94, 0x410, v94
	v_add_co_u32 v26, vcc_lo, v30, v26
	v_lshlrev_b64 v[24:25], 4, v[24:25]
	v_lshlrev_b64 v[28:29], 4, v[94:95]
	v_add_co_ci_u32_e32 v27, vcc_lo, v31, v27, vcc_lo
	v_add_co_u32 v24, vcc_lo, v30, v24
	v_add_co_ci_u32_e32 v25, vcc_lo, v31, v25, vcc_lo
	v_add_co_u32 v28, vcc_lo, v30, v28
	v_add_co_ci_u32_e32 v29, vcc_lo, v31, v29, vcc_lo
	s_waitcnt lgkmcnt(4)
	global_store_dwordx4 v[20:21], v[0:3], off
	s_waitcnt lgkmcnt(3)
	global_store_dwordx4 v[22:23], v[4:7], off
	;; [unrolled: 2-line block ×5, first 2 shown]
.LBB0_29:
	s_endpgm
	.section	.rodata,"a",@progbits
	.p2align	6, 0x0
	.amdhsa_kernel fft_rtc_back_len1144_factors_13_11_8_wgs_104_tpt_104_dp_op_CI_CI_unitstride_sbrr_C2R_dirReg
		.amdhsa_group_segment_fixed_size 0
		.amdhsa_private_segment_fixed_size 0
		.amdhsa_kernarg_size 104
		.amdhsa_user_sgpr_count 6
		.amdhsa_user_sgpr_private_segment_buffer 1
		.amdhsa_user_sgpr_dispatch_ptr 0
		.amdhsa_user_sgpr_queue_ptr 0
		.amdhsa_user_sgpr_kernarg_segment_ptr 1
		.amdhsa_user_sgpr_dispatch_id 0
		.amdhsa_user_sgpr_flat_scratch_init 0
		.amdhsa_user_sgpr_private_segment_size 0
		.amdhsa_wavefront_size32 1
		.amdhsa_uses_dynamic_stack 0
		.amdhsa_system_sgpr_private_segment_wavefront_offset 0
		.amdhsa_system_sgpr_workgroup_id_x 1
		.amdhsa_system_sgpr_workgroup_id_y 0
		.amdhsa_system_sgpr_workgroup_id_z 0
		.amdhsa_system_sgpr_workgroup_info 0
		.amdhsa_system_vgpr_workitem_id 0
		.amdhsa_next_free_vgpr 252
		.amdhsa_next_free_sgpr 40
		.amdhsa_reserve_vcc 1
		.amdhsa_reserve_flat_scratch 0
		.amdhsa_float_round_mode_32 0
		.amdhsa_float_round_mode_16_64 0
		.amdhsa_float_denorm_mode_32 3
		.amdhsa_float_denorm_mode_16_64 3
		.amdhsa_dx10_clamp 1
		.amdhsa_ieee_mode 1
		.amdhsa_fp16_overflow 0
		.amdhsa_workgroup_processor_mode 1
		.amdhsa_memory_ordered 1
		.amdhsa_forward_progress 0
		.amdhsa_shared_vgpr_count 0
		.amdhsa_exception_fp_ieee_invalid_op 0
		.amdhsa_exception_fp_denorm_src 0
		.amdhsa_exception_fp_ieee_div_zero 0
		.amdhsa_exception_fp_ieee_overflow 0
		.amdhsa_exception_fp_ieee_underflow 0
		.amdhsa_exception_fp_ieee_inexact 0
		.amdhsa_exception_int_div_zero 0
	.end_amdhsa_kernel
	.text
.Lfunc_end0:
	.size	fft_rtc_back_len1144_factors_13_11_8_wgs_104_tpt_104_dp_op_CI_CI_unitstride_sbrr_C2R_dirReg, .Lfunc_end0-fft_rtc_back_len1144_factors_13_11_8_wgs_104_tpt_104_dp_op_CI_CI_unitstride_sbrr_C2R_dirReg
                                        ; -- End function
	.section	.AMDGPU.csdata,"",@progbits
; Kernel info:
; codeLenInByte = 12864
; NumSgprs: 42
; NumVgprs: 252
; ScratchSize: 0
; MemoryBound: 0
; FloatMode: 240
; IeeeMode: 1
; LDSByteSize: 0 bytes/workgroup (compile time only)
; SGPRBlocks: 5
; VGPRBlocks: 31
; NumSGPRsForWavesPerEU: 42
; NumVGPRsForWavesPerEU: 252
; Occupancy: 4
; WaveLimiterHint : 1
; COMPUTE_PGM_RSRC2:SCRATCH_EN: 0
; COMPUTE_PGM_RSRC2:USER_SGPR: 6
; COMPUTE_PGM_RSRC2:TRAP_HANDLER: 0
; COMPUTE_PGM_RSRC2:TGID_X_EN: 1
; COMPUTE_PGM_RSRC2:TGID_Y_EN: 0
; COMPUTE_PGM_RSRC2:TGID_Z_EN: 0
; COMPUTE_PGM_RSRC2:TIDIG_COMP_CNT: 0
	.text
	.p2alignl 6, 3214868480
	.fill 48, 4, 3214868480
	.type	__hip_cuid_aa44b52bccbabac9,@object ; @__hip_cuid_aa44b52bccbabac9
	.section	.bss,"aw",@nobits
	.globl	__hip_cuid_aa44b52bccbabac9
__hip_cuid_aa44b52bccbabac9:
	.byte	0                               ; 0x0
	.size	__hip_cuid_aa44b52bccbabac9, 1

	.ident	"AMD clang version 19.0.0git (https://github.com/RadeonOpenCompute/llvm-project roc-6.4.0 25133 c7fe45cf4b819c5991fe208aaa96edf142730f1d)"
	.section	".note.GNU-stack","",@progbits
	.addrsig
	.addrsig_sym __hip_cuid_aa44b52bccbabac9
	.amdgpu_metadata
---
amdhsa.kernels:
  - .args:
      - .actual_access:  read_only
        .address_space:  global
        .offset:         0
        .size:           8
        .value_kind:     global_buffer
      - .offset:         8
        .size:           8
        .value_kind:     by_value
      - .actual_access:  read_only
        .address_space:  global
        .offset:         16
        .size:           8
        .value_kind:     global_buffer
      - .actual_access:  read_only
        .address_space:  global
        .offset:         24
        .size:           8
        .value_kind:     global_buffer
      - .actual_access:  read_only
        .address_space:  global
        .offset:         32
        .size:           8
        .value_kind:     global_buffer
      - .offset:         40
        .size:           8
        .value_kind:     by_value
      - .actual_access:  read_only
        .address_space:  global
        .offset:         48
        .size:           8
        .value_kind:     global_buffer
      - .actual_access:  read_only
        .address_space:  global
        .offset:         56
        .size:           8
        .value_kind:     global_buffer
      - .offset:         64
        .size:           4
        .value_kind:     by_value
      - .actual_access:  read_only
        .address_space:  global
        .offset:         72
        .size:           8
        .value_kind:     global_buffer
      - .actual_access:  read_only
        .address_space:  global
        .offset:         80
        .size:           8
        .value_kind:     global_buffer
      - .actual_access:  read_only
        .address_space:  global
        .offset:         88
        .size:           8
        .value_kind:     global_buffer
      - .actual_access:  write_only
        .address_space:  global
        .offset:         96
        .size:           8
        .value_kind:     global_buffer
    .group_segment_fixed_size: 0
    .kernarg_segment_align: 8
    .kernarg_segment_size: 104
    .language:       OpenCL C
    .language_version:
      - 2
      - 0
    .max_flat_workgroup_size: 104
    .name:           fft_rtc_back_len1144_factors_13_11_8_wgs_104_tpt_104_dp_op_CI_CI_unitstride_sbrr_C2R_dirReg
    .private_segment_fixed_size: 0
    .sgpr_count:     42
    .sgpr_spill_count: 0
    .symbol:         fft_rtc_back_len1144_factors_13_11_8_wgs_104_tpt_104_dp_op_CI_CI_unitstride_sbrr_C2R_dirReg.kd
    .uniform_work_group_size: 1
    .uses_dynamic_stack: false
    .vgpr_count:     252
    .vgpr_spill_count: 0
    .wavefront_size: 32
    .workgroup_processor_mode: 1
amdhsa.target:   amdgcn-amd-amdhsa--gfx1030
amdhsa.version:
  - 1
  - 2
...

	.end_amdgpu_metadata
